;; amdgpu-corpus repo=ROCm/rocFFT kind=compiled arch=gfx1030 opt=O3
	.text
	.amdgcn_target "amdgcn-amd-amdhsa--gfx1030"
	.amdhsa_code_object_version 6
	.protected	fft_rtc_fwd_len720_factors_10_3_8_3_wgs_240_tpt_120_halfLds_half_op_CI_CI_unitstride_sbrr_C2R_dirReg ; -- Begin function fft_rtc_fwd_len720_factors_10_3_8_3_wgs_240_tpt_120_halfLds_half_op_CI_CI_unitstride_sbrr_C2R_dirReg
	.globl	fft_rtc_fwd_len720_factors_10_3_8_3_wgs_240_tpt_120_halfLds_half_op_CI_CI_unitstride_sbrr_C2R_dirReg
	.p2align	8
	.type	fft_rtc_fwd_len720_factors_10_3_8_3_wgs_240_tpt_120_halfLds_half_op_CI_CI_unitstride_sbrr_C2R_dirReg,@function
fft_rtc_fwd_len720_factors_10_3_8_3_wgs_240_tpt_120_halfLds_half_op_CI_CI_unitstride_sbrr_C2R_dirReg: ; @fft_rtc_fwd_len720_factors_10_3_8_3_wgs_240_tpt_120_halfLds_half_op_CI_CI_unitstride_sbrr_C2R_dirReg
; %bb.0:
	s_clause 0x2
	s_load_dwordx4 s[12:15], s[4:5], 0x0
	s_load_dwordx4 s[8:11], s[4:5], 0x58
	;; [unrolled: 1-line block ×3, first 2 shown]
	v_mul_u32_u24_e32 v1, 0x223, v0
	v_mov_b32_e32 v8, 0
	v_mov_b32_e32 v6, 0
	;; [unrolled: 1-line block ×3, first 2 shown]
	v_lshrrev_b32_e32 v5, 16, v1
	v_mov_b32_e32 v11, v8
	v_lshl_add_u32 v10, s6, 1, v5
	s_waitcnt lgkmcnt(0)
	v_cmp_lt_u64_e64 s0, s[14:15], 2
	s_and_b32 vcc_lo, exec_lo, s0
	s_cbranch_vccnz .LBB0_8
; %bb.1:
	s_load_dwordx2 s[0:1], s[4:5], 0x10
	v_mov_b32_e32 v6, 0
	v_mov_b32_e32 v7, 0
	s_add_u32 s2, s18, 8
	s_addc_u32 s3, s19, 0
	v_mov_b32_e32 v1, v6
	s_add_u32 s6, s16, 8
	v_mov_b32_e32 v2, v7
	s_addc_u32 s7, s17, 0
	s_mov_b64 s[22:23], 1
	s_waitcnt lgkmcnt(0)
	s_add_u32 s20, s0, 8
	s_addc_u32 s21, s1, 0
.LBB0_2:                                ; =>This Inner Loop Header: Depth=1
	s_load_dwordx2 s[24:25], s[20:21], 0x0
                                        ; implicit-def: $vgpr3_vgpr4
	s_mov_b32 s0, exec_lo
	s_waitcnt lgkmcnt(0)
	v_or_b32_e32 v9, s25, v11
	v_cmpx_ne_u64_e32 0, v[8:9]
	s_xor_b32 s1, exec_lo, s0
	s_cbranch_execz .LBB0_4
; %bb.3:                                ;   in Loop: Header=BB0_2 Depth=1
	v_cvt_f32_u32_e32 v3, s24
	v_cvt_f32_u32_e32 v4, s25
	s_sub_u32 s0, 0, s24
	s_subb_u32 s26, 0, s25
	v_fmac_f32_e32 v3, 0x4f800000, v4
	v_rcp_f32_e32 v3, v3
	v_mul_f32_e32 v3, 0x5f7ffffc, v3
	v_mul_f32_e32 v4, 0x2f800000, v3
	v_trunc_f32_e32 v4, v4
	v_fmac_f32_e32 v3, 0xcf800000, v4
	v_cvt_u32_f32_e32 v4, v4
	v_cvt_u32_f32_e32 v3, v3
	v_mul_lo_u32 v9, s0, v4
	v_mul_hi_u32 v12, s0, v3
	v_mul_lo_u32 v13, s26, v3
	v_add_nc_u32_e32 v9, v12, v9
	v_mul_lo_u32 v12, s0, v3
	v_add_nc_u32_e32 v9, v9, v13
	v_mul_hi_u32 v13, v3, v12
	v_mul_lo_u32 v14, v3, v9
	v_mul_hi_u32 v15, v3, v9
	v_mul_hi_u32 v16, v4, v12
	v_mul_lo_u32 v12, v4, v12
	v_mul_hi_u32 v17, v4, v9
	v_mul_lo_u32 v9, v4, v9
	v_add_co_u32 v13, vcc_lo, v13, v14
	v_add_co_ci_u32_e32 v14, vcc_lo, 0, v15, vcc_lo
	v_add_co_u32 v12, vcc_lo, v13, v12
	v_add_co_ci_u32_e32 v12, vcc_lo, v14, v16, vcc_lo
	v_add_co_ci_u32_e32 v13, vcc_lo, 0, v17, vcc_lo
	v_add_co_u32 v9, vcc_lo, v12, v9
	v_add_co_ci_u32_e32 v12, vcc_lo, 0, v13, vcc_lo
	v_add_co_u32 v3, vcc_lo, v3, v9
	v_add_co_ci_u32_e32 v4, vcc_lo, v4, v12, vcc_lo
	v_mul_hi_u32 v9, s0, v3
	v_mul_lo_u32 v13, s26, v3
	v_mul_lo_u32 v12, s0, v4
	v_add_nc_u32_e32 v9, v9, v12
	v_mul_lo_u32 v12, s0, v3
	v_add_nc_u32_e32 v9, v9, v13
	v_mul_hi_u32 v13, v3, v12
	v_mul_lo_u32 v14, v3, v9
	v_mul_hi_u32 v15, v3, v9
	v_mul_hi_u32 v16, v4, v12
	v_mul_lo_u32 v12, v4, v12
	v_mul_hi_u32 v17, v4, v9
	v_mul_lo_u32 v9, v4, v9
	v_add_co_u32 v13, vcc_lo, v13, v14
	v_add_co_ci_u32_e32 v14, vcc_lo, 0, v15, vcc_lo
	v_add_co_u32 v12, vcc_lo, v13, v12
	v_add_co_ci_u32_e32 v12, vcc_lo, v14, v16, vcc_lo
	v_add_co_ci_u32_e32 v13, vcc_lo, 0, v17, vcc_lo
	v_add_co_u32 v9, vcc_lo, v12, v9
	v_add_co_ci_u32_e32 v12, vcc_lo, 0, v13, vcc_lo
	v_add_co_u32 v9, vcc_lo, v3, v9
	v_add_co_ci_u32_e32 v14, vcc_lo, v4, v12, vcc_lo
	v_mul_hi_u32 v16, v10, v9
	v_mad_u64_u32 v[12:13], null, v11, v9, 0
	v_mad_u64_u32 v[3:4], null, v10, v14, 0
	v_mad_u64_u32 v[14:15], null, v11, v14, 0
	v_add_co_u32 v3, vcc_lo, v16, v3
	v_add_co_ci_u32_e32 v4, vcc_lo, 0, v4, vcc_lo
	v_add_co_u32 v3, vcc_lo, v3, v12
	v_add_co_ci_u32_e32 v3, vcc_lo, v4, v13, vcc_lo
	v_add_co_ci_u32_e32 v4, vcc_lo, 0, v15, vcc_lo
	v_add_co_u32 v9, vcc_lo, v3, v14
	v_add_co_ci_u32_e32 v12, vcc_lo, 0, v4, vcc_lo
	v_mul_lo_u32 v13, s25, v9
	v_mad_u64_u32 v[3:4], null, s24, v9, 0
	v_mul_lo_u32 v14, s24, v12
	v_sub_co_u32 v3, vcc_lo, v10, v3
	v_add3_u32 v4, v4, v14, v13
	v_sub_nc_u32_e32 v13, v11, v4
	v_subrev_co_ci_u32_e64 v13, s0, s25, v13, vcc_lo
	v_add_co_u32 v14, s0, v9, 2
	v_add_co_ci_u32_e64 v15, s0, 0, v12, s0
	v_sub_co_u32 v16, s0, v3, s24
	v_sub_co_ci_u32_e32 v4, vcc_lo, v11, v4, vcc_lo
	v_subrev_co_ci_u32_e64 v13, s0, 0, v13, s0
	v_cmp_le_u32_e32 vcc_lo, s24, v16
	v_cmp_eq_u32_e64 s0, s25, v4
	v_cndmask_b32_e64 v16, 0, -1, vcc_lo
	v_cmp_le_u32_e32 vcc_lo, s25, v13
	v_cndmask_b32_e64 v17, 0, -1, vcc_lo
	v_cmp_le_u32_e32 vcc_lo, s24, v3
	;; [unrolled: 2-line block ×3, first 2 shown]
	v_cndmask_b32_e64 v18, 0, -1, vcc_lo
	v_cmp_eq_u32_e32 vcc_lo, s25, v13
	v_cndmask_b32_e64 v3, v18, v3, s0
	v_cndmask_b32_e32 v13, v17, v16, vcc_lo
	v_add_co_u32 v16, vcc_lo, v9, 1
	v_add_co_ci_u32_e32 v17, vcc_lo, 0, v12, vcc_lo
	v_cmp_ne_u32_e32 vcc_lo, 0, v13
	v_cndmask_b32_e32 v4, v17, v15, vcc_lo
	v_cndmask_b32_e32 v13, v16, v14, vcc_lo
	v_cmp_ne_u32_e32 vcc_lo, 0, v3
	v_cndmask_b32_e32 v4, v12, v4, vcc_lo
	v_cndmask_b32_e32 v3, v9, v13, vcc_lo
.LBB0_4:                                ;   in Loop: Header=BB0_2 Depth=1
	s_andn2_saveexec_b32 s0, s1
	s_cbranch_execz .LBB0_6
; %bb.5:                                ;   in Loop: Header=BB0_2 Depth=1
	v_cvt_f32_u32_e32 v3, s24
	s_sub_i32 s1, 0, s24
	v_rcp_iflag_f32_e32 v3, v3
	v_mul_f32_e32 v3, 0x4f7ffffe, v3
	v_cvt_u32_f32_e32 v3, v3
	v_mul_lo_u32 v4, s1, v3
	v_mul_hi_u32 v4, v3, v4
	v_add_nc_u32_e32 v3, v3, v4
	v_mul_hi_u32 v3, v10, v3
	v_mul_lo_u32 v4, v3, s24
	v_add_nc_u32_e32 v9, 1, v3
	v_sub_nc_u32_e32 v4, v10, v4
	v_subrev_nc_u32_e32 v12, s24, v4
	v_cmp_le_u32_e32 vcc_lo, s24, v4
	v_cndmask_b32_e32 v4, v4, v12, vcc_lo
	v_cndmask_b32_e32 v3, v3, v9, vcc_lo
	v_cmp_le_u32_e32 vcc_lo, s24, v4
	v_add_nc_u32_e32 v9, 1, v3
	v_mov_b32_e32 v4, v8
	v_cndmask_b32_e32 v3, v3, v9, vcc_lo
.LBB0_6:                                ;   in Loop: Header=BB0_2 Depth=1
	s_or_b32 exec_lo, exec_lo, s0
	v_mul_lo_u32 v9, v4, s24
	v_mul_lo_u32 v14, v3, s25
	s_load_dwordx2 s[0:1], s[6:7], 0x0
	v_mad_u64_u32 v[12:13], null, v3, s24, 0
	s_load_dwordx2 s[24:25], s[2:3], 0x0
	s_add_u32 s22, s22, 1
	s_addc_u32 s23, s23, 0
	s_add_u32 s2, s2, 8
	s_addc_u32 s3, s3, 0
	s_add_u32 s6, s6, 8
	v_add3_u32 v9, v13, v14, v9
	v_sub_co_u32 v10, vcc_lo, v10, v12
	s_addc_u32 s7, s7, 0
	s_add_u32 s20, s20, 8
	v_sub_co_ci_u32_e32 v9, vcc_lo, v11, v9, vcc_lo
	s_addc_u32 s21, s21, 0
	s_waitcnt lgkmcnt(0)
	v_mul_lo_u32 v11, s0, v9
	v_mul_lo_u32 v12, s1, v10
	v_mad_u64_u32 v[6:7], null, s0, v10, v[6:7]
	v_mul_lo_u32 v9, s24, v9
	v_mul_lo_u32 v13, s25, v10
	v_mad_u64_u32 v[1:2], null, s24, v10, v[1:2]
	v_cmp_ge_u64_e64 s0, s[22:23], s[14:15]
	v_add3_u32 v7, v12, v7, v11
	v_add3_u32 v2, v13, v2, v9
	s_and_b32 vcc_lo, exec_lo, s0
	s_cbranch_vccnz .LBB0_9
; %bb.7:                                ;   in Loop: Header=BB0_2 Depth=1
	v_mov_b32_e32 v11, v4
	v_mov_b32_e32 v10, v3
	s_branch .LBB0_2
.LBB0_8:
	v_mov_b32_e32 v1, v6
	v_mov_b32_e32 v3, v10
	;; [unrolled: 1-line block ×4, first 2 shown]
.LBB0_9:
	s_load_dwordx2 s[0:1], s[4:5], 0x28
	v_and_b32_e32 v5, 1, v5
	v_mul_hi_u32 v9, 0x2222223, v0
	s_lshl_b64 s[4:5], s[14:15], 3
	s_add_u32 s2, s18, s4
	s_addc_u32 s3, s19, s5
	s_waitcnt lgkmcnt(0)
	v_cmp_gt_u64_e32 vcc_lo, s[0:1], v[3:4]
	v_cmp_le_u64_e64 s1, s[0:1], v[3:4]
	v_cmp_eq_u32_e64 s0, 1, v5
                                        ; implicit-def: $vgpr5
	s_and_saveexec_b32 s6, s1
	s_xor_b32 s1, exec_lo, s6
; %bb.10:
	v_mul_u32_u24_e32 v5, 0x78, v9
                                        ; implicit-def: $vgpr9
                                        ; implicit-def: $vgpr6_vgpr7
	v_sub_nc_u32_e32 v5, v0, v5
                                        ; implicit-def: $vgpr0
; %bb.11:
	s_or_saveexec_b32 s1, s1
	s_load_dwordx2 s[2:3], s[2:3], 0x0
	v_cndmask_b32_e64 v8, 0, 0x2d1, s0
	v_lshlrev_b32_e32 v17, 2, v8
	s_xor_b32 exec_lo, exec_lo, s1
	s_cbranch_execz .LBB0_15
; %bb.12:
	s_add_u32 s4, s16, s4
	s_addc_u32 s5, s17, s5
	v_lshlrev_b64 v[6:7], 2, v[6:7]
	s_load_dwordx2 s[4:5], s[4:5], 0x0
	s_waitcnt lgkmcnt(0)
	v_mul_lo_u32 v5, s5, v3
	v_mul_lo_u32 v12, s4, v4
	v_mad_u64_u32 v[10:11], null, s4, v3, 0
	s_mov_b32 s4, exec_lo
	v_add3_u32 v11, v11, v12, v5
	v_mul_u32_u24_e32 v5, 0x78, v9
	v_lshlrev_b64 v[9:10], 2, v[10:11]
	v_sub_nc_u32_e32 v5, v0, v5
	v_lshlrev_b32_e32 v13, 2, v5
	v_add_co_u32 v0, s0, s8, v9
	v_add_co_ci_u32_e64 v9, s0, s9, v10, s0
	v_add_co_u32 v0, s0, v0, v6
	v_add_co_ci_u32_e64 v6, s0, v9, v7, s0
	v_add3_u32 v7, 0, v17, v13
	v_add_co_u32 v9, s0, v0, v13
	v_add_co_ci_u32_e64 v10, s0, 0, v6, s0
	v_add_co_u32 v11, s0, 0x800, v9
	v_add_co_ci_u32_e64 v12, s0, 0, v10, s0
	s_clause 0x5
	global_load_dword v14, v[9:10], off
	global_load_dword v15, v[9:10], off offset:480
	global_load_dword v16, v[9:10], off offset:960
	;; [unrolled: 1-line block ×5, first 2 shown]
	v_add_nc_u32_e32 v11, 0x200, v7
	v_add_nc_u32_e32 v12, 0x600, v7
	s_waitcnt vmcnt(4)
	ds_write2_b32 v7, v14, v15 offset1:120
	s_waitcnt vmcnt(2)
	ds_write2_b32 v11, v16, v18 offset0:112 offset1:232
	s_waitcnt vmcnt(0)
	ds_write2_b32 v12, v9, v10 offset0:96 offset1:216
	v_cmpx_eq_u32_e32 0x77, v5
	s_cbranch_execz .LBB0_14
; %bb.13:
	v_add_co_u32 v5, s0, 0x800, v0
	v_add_co_ci_u32_e64 v6, s0, 0, v6, s0
	global_load_dword v0, v[5:6], off offset:832
	v_mov_b32_e32 v5, 0x77
	s_waitcnt vmcnt(0)
	ds_write_b32 v7, v0 offset:2404
.LBB0_14:
	s_or_b32 exec_lo, exec_lo, s4
.LBB0_15:
	s_or_b32 exec_lo, exec_lo, s1
	v_lshl_add_u32 v0, v8, 2, 0
	v_lshlrev_b32_e32 v6, 2, v5
	s_waitcnt lgkmcnt(0)
	s_barrier
	buffer_gl0_inv
	s_add_u32 s1, s12, 0xb18
	v_add_nc_u32_e32 v16, v0, v6
	v_sub_nc_u32_e32 v9, v0, v6
	s_addc_u32 s4, s13, 0
	s_mov_b32 s5, exec_lo
	ds_read_u16 v12, v16
	ds_read_u16 v13, v9 offset:2880
                                        ; implicit-def: $vgpr6_vgpr7
	s_waitcnt lgkmcnt(0)
	v_add_f16_e32 v11, v13, v12
	v_sub_f16_e32 v10, v12, v13
	v_cmpx_ne_u32_e32 0, v5
	s_xor_b32 s5, exec_lo, s5
	s_cbranch_execz .LBB0_17
; %bb.16:
	v_mov_b32_e32 v6, 0
	v_add_f16_e32 v14, v13, v12
	v_sub_f16_e32 v12, v12, v13
	v_lshlrev_b64 v[10:11], 2, v[5:6]
	v_add_co_u32 v10, s0, s1, v10
	v_add_co_ci_u32_e64 v11, s0, s4, v11, s0
	global_load_dword v7, v[10:11], off
	ds_read_u16 v10, v9 offset:2882
	ds_read_u16 v11, v16 offset:2
	s_waitcnt lgkmcnt(0)
	v_add_f16_e32 v13, v10, v11
	v_sub_f16_e32 v10, v11, v10
	s_waitcnt vmcnt(0)
	v_lshrrev_b32_e32 v15, 16, v7
	v_fma_f16 v18, -v12, v15, v14
	v_fma_f16 v19, v13, v15, -v10
	v_fma_f16 v10, v13, v15, v10
	v_fma_f16 v11, v12, v15, v14
	v_fmac_f16_e32 v18, v7, v13
	v_fmac_f16_e32 v19, v12, v7
	;; [unrolled: 1-line block ×3, first 2 shown]
	v_fma_f16 v11, -v7, v13, v11
	v_mov_b32_e32 v7, v6
	v_mov_b32_e32 v6, v5
	v_pack_b32_f16 v12, v18, v19
	ds_write_b32 v9, v12 offset:2880
.LBB0_17:
	s_andn2_saveexec_b32 s0, s5
	s_cbranch_execz .LBB0_19
; %bb.18:
	ds_read_b32 v6, v0 offset:1440
	s_waitcnt lgkmcnt(0)
	v_pk_mul_f16 v12, 0xc0004000, v6
	v_mov_b32_e32 v6, 0
	v_mov_b32_e32 v7, 0
	ds_write_b32 v0, v12 offset:1440
.LBB0_19:
	s_or_b32 exec_lo, exec_lo, s0
	v_lshlrev_b64 v[6:7], 2, v[6:7]
	v_lshl_add_u32 v22, v5, 2, 0
	v_add_co_u32 v6, s0, s1, v6
	v_add_co_ci_u32_e64 v7, s0, s4, v7, s0
	s_mov_b32 s1, exec_lo
	s_clause 0x1
	global_load_dword v12, v[6:7], off offset:480
	global_load_dword v6, v[6:7], off offset:960
	v_perm_b32 v7, v10, v11, 0x5040100
	ds_write_b32 v16, v7
	ds_read_b32 v7, v16 offset:480
	ds_read_b32 v10, v9 offset:2400
	s_waitcnt lgkmcnt(0)
	v_add_f16_e32 v11, v7, v10
	v_add_f16_sdwa v13, v10, v7 dst_sel:DWORD dst_unused:UNUSED_PAD src0_sel:WORD_1 src1_sel:WORD_1
	v_sub_f16_e32 v14, v7, v10
	v_sub_f16_sdwa v7, v7, v10 dst_sel:DWORD dst_unused:UNUSED_PAD src0_sel:WORD_1 src1_sel:WORD_1
	s_waitcnt vmcnt(1)
	v_lshrrev_b32_e32 v15, 16, v12
	v_fma_f16 v10, v14, v15, v11
	v_fma_f16 v18, v13, v15, v7
	v_fma_f16 v11, -v14, v15, v11
	v_fma_f16 v7, v13, v15, -v7
	v_fma_f16 v10, -v12, v13, v10
	v_fmac_f16_e32 v18, v14, v12
	v_fmac_f16_e32 v11, v12, v13
	;; [unrolled: 1-line block ×3, first 2 shown]
	v_pack_b32_f16 v10, v10, v18
	v_lshl_add_u32 v18, v8, 2, v22
	v_pack_b32_f16 v7, v11, v7
	s_waitcnt vmcnt(0)
	v_lshrrev_b32_e32 v11, 16, v6
	ds_write_b32 v16, v10 offset:480
	ds_write_b32 v9, v7 offset:2400
	ds_read_b32 v7, v16 offset:960
	ds_read_b32 v10, v9 offset:1920
	v_add_nc_u32_e32 v19, 0x600, v18
	s_waitcnt lgkmcnt(0)
	v_add_f16_e32 v12, v7, v10
	v_add_f16_sdwa v13, v10, v7 dst_sel:DWORD dst_unused:UNUSED_PAD src0_sel:WORD_1 src1_sel:WORD_1
	v_sub_f16_e32 v14, v7, v10
	v_sub_f16_sdwa v7, v7, v10 dst_sel:DWORD dst_unused:UNUSED_PAD src0_sel:WORD_1 src1_sel:WORD_1
	v_fma_f16 v10, v14, v11, v12
	v_fma_f16 v15, v13, v11, v7
	v_fma_f16 v12, -v14, v11, v12
	v_fma_f16 v7, v13, v11, -v7
	v_fma_f16 v10, -v6, v13, v10
	v_fmac_f16_e32 v15, v14, v6
	v_fmac_f16_e32 v12, v6, v13
	;; [unrolled: 1-line block ×3, first 2 shown]
	v_add_nc_u32_e32 v6, 0x400, v18
	v_pack_b32_f16 v8, v10, v15
	v_add_nc_u32_e32 v10, 0x200, v18
	v_pack_b32_f16 v7, v12, v7
	ds_write_b32 v16, v8 offset:960
	ds_write_b32 v9, v7 offset:1920
	s_waitcnt lgkmcnt(0)
	s_barrier
	buffer_gl0_inv
	s_barrier
	buffer_gl0_inv
	ds_read2_b32 v[14:15], v18 offset0:72 offset1:144
	ds_read2_b32 v[12:13], v10 offset0:88 offset1:160
	;; [unrolled: 1-line block ×4, first 2 shown]
	ds_read_b32 v24, v16
	ds_read_b32 v23, v18 offset:2592
	s_waitcnt lgkmcnt(0)
	s_barrier
	buffer_gl0_inv
	v_lshrrev_b32_e32 v37, 16, v14
	v_sub_f16_e32 v20, v15, v13
	v_sub_f16_e32 v48, v12, v10
	v_add_f16_e32 v45, v10, v8
	v_sub_f16_e32 v57, v10, v12
	v_sub_f16_e32 v46, v23, v8
	v_add_f16_e32 v51, v12, v23
	v_sub_f16_e32 v52, v8, v23
	v_add_f16_sdwa v58, v10, v8 dst_sel:DWORD dst_unused:UNUSED_PAD src0_sel:WORD_1 src1_sel:WORD_1
	v_add_f16_sdwa v61, v12, v23 dst_sel:DWORD dst_unused:UNUSED_PAD src0_sel:WORD_1 src1_sel:WORD_1
	v_add_f16_e32 v7, v13, v11
	v_sub_f16_e32 v19, v9, v11
	v_add_f16_e32 v21, v15, v9
	v_sub_f16_sdwa v35, v12, v23 dst_sel:DWORD dst_unused:UNUSED_PAD src0_sel:WORD_1 src1_sel:WORD_1
	v_sub_f16_sdwa v38, v10, v8 dst_sel:DWORD dst_unused:UNUSED_PAD src0_sel:WORD_1 src1_sel:WORD_1
	v_sub_f16_e32 v44, v10, v8
	v_fma_f16 v49, -0.5, v45, v14
	v_add_f16_e32 v50, v48, v46
	v_fma_f16 v46, -0.5, v51, v14
	v_add_f16_e32 v45, v57, v52
	v_fma_f16 v52, -0.5, v58, v37
	v_fmac_f16_e32 v37, -0.5, v61
	v_add_f16_sdwa v28, v13, v11 dst_sel:DWORD dst_unused:UNUSED_PAD src0_sel:WORD_1 src1_sel:WORD_1
	v_lshrrev_b32_e32 v25, 16, v24
	v_add_f16_sdwa v34, v15, v9 dst_sel:DWORD dst_unused:UNUSED_PAD src0_sel:WORD_1 src1_sel:WORD_1
	v_sub_f16_e32 v43, v12, v23
	v_sub_f16_sdwa v62, v10, v12 dst_sel:DWORD dst_unused:UNUSED_PAD src0_sel:WORD_1 src1_sel:WORD_1
	v_sub_f16_sdwa v63, v8, v23 dst_sel:DWORD dst_unused:UNUSED_PAD src0_sel:WORD_1 src1_sel:WORD_1
	v_fma_f16 v39, -0.5, v7, v24
	v_add_f16_e32 v56, v20, v19
	v_fma_f16 v36, -0.5, v21, v24
	v_fmamk_f16 v7, v35, 0x3b9c, v49
	v_fmamk_f16 v19, v38, 0xbb9c, v46
	;; [unrolled: 1-line block ×3, first 2 shown]
	v_sub_f16_sdwa v30, v15, v9 dst_sel:DWORD dst_unused:UNUSED_PAD src0_sel:WORD_1 src1_sel:WORD_1
	v_sub_f16_sdwa v31, v13, v11 dst_sel:DWORD dst_unused:UNUSED_PAD src0_sel:WORD_1 src1_sel:WORD_1
	v_sub_f16_e32 v26, v11, v9
	v_sub_f16_e32 v27, v13, v15
	;; [unrolled: 1-line block ×4, first 2 shown]
	v_sub_f16_sdwa v29, v15, v13 dst_sel:DWORD dst_unused:UNUSED_PAD src0_sel:WORD_1 src1_sel:WORD_1
	v_sub_f16_sdwa v32, v9, v11 dst_sel:DWORD dst_unused:UNUSED_PAD src0_sel:WORD_1 src1_sel:WORD_1
	;; [unrolled: 1-line block ×4, first 2 shown]
	v_fma_f16 v47, -0.5, v28, v25
	v_fmac_f16_e32 v25, -0.5, v34
	v_add_f16_e32 v48, v62, v63
	v_fmamk_f16 v20, v43, 0xbb9c, v52
	v_fmac_f16_e32 v7, 0x38b4, v38
	v_fmac_f16_e32 v19, 0x38b4, v35
	;; [unrolled: 1-line block ×3, first 2 shown]
	v_sub_f16_sdwa v40, v13, v15 dst_sel:DWORD dst_unused:UNUSED_PAD src0_sel:WORD_1 src1_sel:WORD_1
	v_sub_f16_sdwa v42, v11, v9 dst_sel:DWORD dst_unused:UNUSED_PAD src0_sel:WORD_1 src1_sel:WORD_1
	v_add_f16_e32 v55, v27, v26
	v_add_f16_e32 v54, v29, v32
	;; [unrolled: 1-line block ×3, first 2 shown]
	v_fmamk_f16 v27, v30, 0x3b9c, v39
	v_fmamk_f16 v26, v31, 0xbb9c, v36
	;; [unrolled: 1-line block ×4, first 2 shown]
	v_fmac_f16_e32 v20, 0xb8b4, v44
	v_fmac_f16_e32 v7, 0x34f2, v50
	;; [unrolled: 1-line block ×4, first 2 shown]
	v_add_f16_e32 v53, v40, v42
	v_fmac_f16_e32 v27, 0x38b4, v31
	v_fmac_f16_e32 v26, 0x38b4, v30
	;; [unrolled: 1-line block ×5, first 2 shown]
	v_mul_f16_e32 v32, 0x3a79, v7
	v_mul_f16_e32 v34, 0x3b9c, v21
	;; [unrolled: 1-line block ×4, first 2 shown]
	v_fmac_f16_e32 v27, 0x34f2, v56
	v_fmac_f16_e32 v26, 0x34f2, v55
	;; [unrolled: 1-line block ×8, first 2 shown]
	v_sub_f16_e32 v7, v27, v32
	v_sub_f16_e32 v19, v26, v34
	;; [unrolled: 1-line block ×4, first 2 shown]
	v_cmpx_gt_u32_e32 0x48, v5
	s_cbranch_execz .LBB0_21
; %bb.20:
	v_mul_f16_e32 v61, 0x3b9c, v43
	v_mul_f16_e32 v63, 0x38b4, v44
	;; [unrolled: 1-line block ×5, first 2 shown]
	v_add_f16_e32 v52, v52, v61
	v_mul_f16_e32 v61, 0x38b4, v38
	v_mul_f16_e32 v38, 0x3b9c, v38
	;; [unrolled: 1-line block ×3, first 2 shown]
	v_sub_f16_e32 v37, v37, v44
	v_sub_f16_e32 v49, v49, v62
	v_mul_f16_e32 v58, 0x38b4, v31
	v_add_f16_e32 v38, v38, v46
	v_mul_f16_e32 v31, 0x3b9c, v31
	v_mul_f16_e32 v60, 0x38b4, v41
	;; [unrolled: 1-line block ×4, first 2 shown]
	v_add_f16_e32 v37, v43, v37
	v_mul_f16_e32 v43, 0x34f2, v45
	v_sub_f16_e32 v35, v38, v35
	v_mul_f16_e32 v57, 0x3b9c, v30
	v_mul_f16_e32 v59, 0x3b9c, v33
	;; [unrolled: 1-line block ×4, first 2 shown]
	v_add_f16_e32 v52, v63, v52
	v_sub_f16_e32 v49, v49, v61
	v_pk_add_f16 v15, v24, v15
	v_pk_add_f16 v12, v14, v12
	v_mul_f16_e32 v30, 0x38b4, v30
	v_mul_f16_e32 v33, 0x38b4, v33
	v_sub_f16_e32 v25, v25, v41
	v_add_f16_e32 v37, v48, v37
	v_add_f16_e32 v31, v31, v36
	;; [unrolled: 1-line block ×6, first 2 shown]
	v_sub_f16_e32 v38, v39, v57
	v_pk_add_f16 v13, v15, v13
	v_pk_add_f16 v10, v12, v10
	v_mul_f16_e32 v55, 0x34f2, v55
	v_mul_f16_e32 v53, 0x34f2, v53
	v_add_f16_e32 v25, v33, v25
	v_mul_f16_e32 v36, 0x34f2, v37
	v_sub_f16_e32 v30, v31, v30
	v_mul_f16_e32 v31, 0x34f2, v35
	v_mul_f16_e32 v56, 0x34f2, v56
	;; [unrolled: 1-line block ×3, first 2 shown]
	v_add_f16_e32 v47, v60, v47
	v_mul_f16_e32 v50, 0x3a79, v51
	v_sub_f16_e32 v38, v38, v58
	v_mul_f16_e32 v39, 0x3a79, v49
	v_pk_add_f16 v11, v13, v11
	v_pk_add_f16 v8, v10, v8
	v_add_f16_e32 v25, v53, v25
	v_fma_f16 v35, v35, 0xbb9c, -v36
	v_add_f16_e32 v30, v55, v30
	v_fma_f16 v31, v37, 0x3b9c, -v31
	;; [unrolled: 2-line block ×4, first 2 shown]
	v_add_f16_e32 v10, v28, v40
	v_mul_u32_u24_e32 v28, 36, v5
	v_pk_add_f16 v9, v11, v9
	v_pk_add_f16 v8, v8, v23
	v_add_f16_e32 v11, v27, v32
	v_sub_f16_e32 v14, v25, v35
	v_add_f16_e32 v15, v25, v35
	v_add_f16_e32 v25, v29, v42
	;; [unrolled: 1-line block ×6, first 2 shown]
	v_sub_f16_e32 v33, v44, v41
	v_sub_f16_e32 v24, v36, v38
	;; [unrolled: 1-line block ×3, first 2 shown]
	v_add3_u32 v22, v22, v28, v17
	v_pk_add_f16 v27, v9, v8
	v_pack_b32_f16 v10, v11, v10
	v_pack_b32_f16 v11, v23, v15
	;; [unrolled: 1-line block ×3, first 2 shown]
	v_pk_add_f16 v8, v9, v8 neg_lo:[0,1] neg_hi:[0,1]
	v_pack_b32_f16 v9, v13, v12
	v_perm_b32 v12, v20, v19, 0x5040100
	v_perm_b32 v13, v21, v7, 0x5040100
	v_pack_b32_f16 v23, v24, v33
	v_pack_b32_f16 v14, v37, v14
	ds_write2_b32 v22, v27, v10 offset1:1
	ds_write2_b32 v22, v15, v11 offset0:2 offset1:3
	ds_write2_b32 v22, v9, v8 offset0:4 offset1:5
	;; [unrolled: 1-line block ×4, first 2 shown]
.LBB0_21:
	s_or_b32 exec_lo, exec_lo, s1
	v_and_b32_e32 v14, 0xff, v5
	v_add_nc_u32_e32 v13, 0x78, v5
	s_waitcnt lgkmcnt(0)
	s_barrier
	buffer_gl0_inv
	v_mul_lo_u16 v8, 0xcd, v14
	v_and_b32_e32 v9, 0xff, v13
	v_mov_b32_e32 v31, 2
	v_cmp_gt_u32_e64 s0, 0x5a, v5
	v_lshrrev_b16 v8, 11, v8
	v_mul_lo_u16 v9, 0xcd, v9
	v_mul_lo_u16 v10, v8, 10
	v_lshrrev_b16 v12, 11, v9
	v_mov_b32_e32 v9, 3
	v_and_b32_e32 v8, 0xffff, v8
	v_sub_nc_u16 v15, v5, v10
	v_mul_lo_u16 v10, v12, 10
	v_and_b32_e32 v12, 0xffff, v12
	v_mad_u32_u24 v8, 0x78, v8, 0
	v_lshlrev_b32_sdwa v11, v9, v15 dst_sel:DWORD dst_unused:UNUSED_PAD src0_sel:DWORD src1_sel:BYTE_0
	v_sub_nc_u16 v23, v13, v10
	v_lshlrev_b32_sdwa v15, v31, v15 dst_sel:DWORD dst_unused:UNUSED_PAD src0_sel:DWORD src1_sel:BYTE_0
	v_mad_u32_u24 v12, 0x78, v12, 0
	global_load_dwordx2 v[25:26], v11, s[12:13]
	v_lshlrev_b32_sdwa v9, v9, v23 dst_sel:DWORD dst_unused:UNUSED_PAD src0_sel:DWORD src1_sel:BYTE_0
	v_add3_u32 v36, v8, v15, v17
	v_lshlrev_b32_sdwa v8, v31, v23 dst_sel:DWORD dst_unused:UNUSED_PAD src0_sel:DWORD src1_sel:BYTE_0
	global_load_dwordx2 v[27:28], v9, s[12:13]
	ds_read_b32 v9, v16
	ds_read2_b32 v[10:11], v18 offset0:120 offset1:240
	ds_read2_b32 v[29:30], v6 offset0:104 offset1:224
	ds_read_b32 v6, v18 offset:2400
	v_add3_u32 v37, v12, v8, v17
	s_waitcnt vmcnt(0) lgkmcnt(0)
	s_barrier
	buffer_gl0_inv
	v_lshrrev_b32_e32 v22, 16, v9
	v_lshrrev_b32_e32 v32, 16, v11
	;; [unrolled: 1-line block ×6, first 2 shown]
	v_mul_f16_sdwa v15, v25, v32 dst_sel:DWORD dst_unused:UNUSED_PAD src0_sel:WORD_1 src1_sel:DWORD
	v_mul_f16_sdwa v23, v25, v11 dst_sel:DWORD dst_unused:UNUSED_PAD src0_sel:WORD_1 src1_sel:DWORD
	;; [unrolled: 1-line block ×4, first 2 shown]
	v_fma_f16 v11, v25, v11, -v15
	v_fmac_f16_e32 v23, v25, v32
	v_fma_f16 v12, v26, v30, -v31
	v_mul_f16_sdwa v15, v27, v34 dst_sel:DWORD dst_unused:UNUSED_PAD src0_sel:WORD_1 src1_sel:DWORD
	v_mul_f16_sdwa v25, v27, v29 dst_sel:DWORD dst_unused:UNUSED_PAD src0_sel:WORD_1 src1_sel:DWORD
	;; [unrolled: 1-line block ×4, first 2 shown]
	v_fmac_f16_e32 v8, v26, v33
	v_fma_f16 v26, v27, v29, -v15
	v_fmac_f16_e32 v25, v27, v34
	v_fma_f16 v6, v28, v6, -v30
	v_fmac_f16_e32 v31, v28, v35
	v_add_f16_e32 v27, v11, v12
	v_add_f16_e32 v30, v23, v8
	;; [unrolled: 1-line block ×5, first 2 shown]
	v_fmac_f16_e32 v9, -0.5, v27
	v_add_f16_e32 v27, v26, v6
	v_sub_f16_e32 v28, v23, v8
	v_sub_f16_e32 v11, v11, v12
	v_fmac_f16_e32 v22, -0.5, v30
	v_add_f16_e32 v15, v15, v12
	v_add_f16_e32 v23, v29, v8
	;; [unrolled: 1-line block ×3, first 2 shown]
	v_sub_f16_e32 v29, v25, v31
	v_add_f16_e32 v30, v24, v25
	v_sub_f16_e32 v33, v26, v6
	v_fmac_f16_e32 v10, -0.5, v27
	v_fmac_f16_e32 v24, -0.5, v32
	v_fmamk_f16 v8, v28, 0x3aee, v9
	v_fmamk_f16 v25, v11, 0xbaee, v22
	v_fmac_f16_e32 v9, 0xbaee, v28
	v_fmac_f16_e32 v22, 0x3aee, v11
	v_add_f16_e32 v11, v12, v6
	v_add_f16_e32 v27, v30, v31
	v_fmamk_f16 v12, v29, 0x3aee, v10
	v_fmamk_f16 v26, v33, 0xbaee, v24
	v_fmac_f16_e32 v10, 0xbaee, v29
	v_fmac_f16_e32 v24, 0x3aee, v33
	v_pack_b32_f16 v6, v15, v23
	v_pack_b32_f16 v28, v8, v25
	;; [unrolled: 1-line block ×6, first 2 shown]
	ds_write2_b32 v36, v6, v28 offset1:10
	ds_write_b32 v36, v29 offset:80
	ds_write2_b32 v37, v30, v31 offset1:10
	ds_write_b32 v37, v32 offset:80
	s_waitcnt lgkmcnt(0)
	s_barrier
	buffer_gl0_inv
	s_and_saveexec_b32 s1, s0
	s_cbranch_execz .LBB0_23
; %bb.22:
	v_add_nc_u32_e32 v6, 0x400, v18
	v_add_nc_u32_e32 v7, 0x600, v18
	ds_read2_b32 v[8:9], v18 offset0:90 offset1:180
	ds_read_b32 v15, v16
	ds_read_b32 v19, v18 offset:2520
	ds_read2_b32 v[11:12], v6 offset0:14 offset1:104
	ds_read2_b32 v[6:7], v7 offset0:66 offset1:156
	s_waitcnt lgkmcnt(4)
	v_lshrrev_b32_e32 v25, 16, v8
	s_waitcnt lgkmcnt(3)
	v_lshrrev_b32_e32 v23, 16, v15
	v_lshrrev_b32_e32 v22, 16, v9
	s_waitcnt lgkmcnt(2)
	v_lshrrev_b32_e32 v20, 16, v19
	s_waitcnt lgkmcnt(1)
	v_lshrrev_b32_e32 v27, 16, v11
	v_lshrrev_b32_e32 v26, 16, v12
	s_waitcnt lgkmcnt(0)
	v_lshrrev_b32_e32 v24, 16, v6
	v_lshrrev_b32_e32 v21, 16, v7
	v_mov_b32_e32 v10, v6
.LBB0_23:
	s_or_b32 exec_lo, exec_lo, s1
	s_barrier
	buffer_gl0_inv
	s_and_saveexec_b32 s1, s0
	s_cbranch_execz .LBB0_25
; %bb.24:
	v_mul_lo_u16 v6, 0x89, v14
	v_mov_b32_e32 v28, 7
	v_mov_b32_e32 v35, 2
	v_lshrrev_b16 v6, 12, v6
	v_mul_lo_u16 v14, v6, 30
	v_and_b32_e32 v6, 0xffff, v6
	v_sub_nc_u16 v14, v5, v14
	v_mad_u32_u24 v6, 0x3c0, v6, 0
	v_mul_u32_u24_sdwa v28, v14, v28 dst_sel:DWORD dst_unused:UNUSED_PAD src0_sel:BYTE_0 src1_sel:DWORD
	v_lshlrev_b32_sdwa v14, v35, v14 dst_sel:DWORD dst_unused:UNUSED_PAD src0_sel:DWORD src1_sel:BYTE_0
	v_lshlrev_b32_e32 v32, 2, v28
	v_add3_u32 v6, v6, v14, v17
	s_clause 0x1
	global_load_dwordx4 v[28:31], v32, s[12:13] offset:80
	global_load_dwordx3 v[32:34], v32, s[12:13] offset:96
	s_waitcnt vmcnt(1)
	v_mul_f16_sdwa v35, v26, v31 dst_sel:DWORD dst_unused:UNUSED_PAD src0_sel:DWORD src1_sel:WORD_1
	v_mul_f16_sdwa v36, v9, v29 dst_sel:DWORD dst_unused:UNUSED_PAD src0_sel:DWORD src1_sel:WORD_1
	s_waitcnt vmcnt(0)
	v_mul_f16_sdwa v37, v7, v33 dst_sel:DWORD dst_unused:UNUSED_PAD src0_sel:DWORD src1_sel:WORD_1
	v_mul_f16_sdwa v38, v25, v28 dst_sel:DWORD dst_unused:UNUSED_PAD src0_sel:DWORD src1_sel:WORD_1
	;; [unrolled: 1-line block ×12, first 2 shown]
	v_fma_f16 v12, v12, v31, -v35
	v_fmac_f16_e32 v36, v22, v29
	v_fmac_f16_e32 v37, v21, v33
	v_fma_f16 v8, v8, v28, -v38
	v_fma_f16 v10, v10, v32, -v39
	v_fmac_f16_e32 v40, v27, v30
	v_fmac_f16_e32 v41, v20, v34
	;; [unrolled: 1-line block ×4, first 2 shown]
	v_fma_f16 v11, v11, v30, -v44
	v_fma_f16 v19, v19, v34, -v45
	v_fmac_f16_e32 v46, v26, v31
	v_fma_f16 v9, v9, v29, -v47
	v_fma_f16 v7, v7, v33, -v48
	v_sub_f16_e32 v12, v15, v12
	v_sub_f16_e32 v20, v36, v37
	;; [unrolled: 1-line block ×10, first 2 shown]
	v_add_f16_e32 v25, v22, v19
	v_fma_f16 v15, v15, 2.0, -v12
	v_add_f16_e32 v26, v24, v7
	v_fma_f16 v7, v9, 2.0, -v7
	v_fma_f16 v9, v42, 2.0, -v22
	;; [unrolled: 1-line block ×7, first 2 shown]
	v_fmamk_f16 v19, v17, 0x39a8, v14
	v_sub_f16_e32 v7, v15, v7
	v_sub_f16_e32 v21, v9, v21
	;; [unrolled: 1-line block ×4, first 2 shown]
	v_fma_f16 v12, v12, 2.0, -v14
	v_fma_f16 v10, v10, 2.0, -v17
	;; [unrolled: 1-line block ×4, first 2 shown]
	v_fmamk_f16 v27, v25, 0x39a8, v26
	v_fmac_f16_e32 v19, 0xb9a8, v25
	v_add_f16_e32 v25, v20, v11
	v_fmamk_f16 v28, v10, 0xb9a8, v12
	v_fmamk_f16 v29, v22, 0xb9a8, v24
	v_fma_f16 v15, v15, 2.0, -v7
	v_fma_f16 v8, v8, 2.0, -v11
	;; [unrolled: 1-line block ×4, first 2 shown]
	v_fmac_f16_e32 v27, 0x39a8, v17
	v_sub_f16_e32 v17, v7, v21
	v_fmac_f16_e32 v28, 0xb9a8, v22
	v_fmac_f16_e32 v29, 0x39a8, v10
	v_sub_f16_e32 v8, v15, v8
	v_sub_f16_e32 v9, v11, v9
	v_fma_f16 v14, v14, 2.0, -v19
	v_fma_f16 v21, v26, 2.0, -v27
	v_fma_f16 v7, v7, 2.0, -v17
	v_fma_f16 v10, v20, 2.0, -v25
	v_fma_f16 v12, v12, 2.0, -v28
	v_fma_f16 v20, v24, 2.0, -v29
	v_fma_f16 v15, v15, 2.0, -v8
	v_fma_f16 v11, v11, 2.0, -v9
	v_pack_b32_f16 v7, v7, v10
	v_pack_b32_f16 v10, v14, v21
	v_pack_b32_f16 v8, v8, v9
	v_pack_b32_f16 v9, v28, v29
	v_pack_b32_f16 v11, v15, v11
	v_pack_b32_f16 v12, v12, v20
	v_pack_b32_f16 v17, v17, v25
	v_pack_b32_f16 v14, v19, v27
	ds_write2_b32 v6, v7, v10 offset0:60 offset1:90
	ds_write2_b32 v6, v8, v9 offset0:120 offset1:150
	ds_write2_b32 v6, v11, v12 offset1:30
	ds_write2_b32 v6, v17, v14 offset0:180 offset1:210
.LBB0_25:
	s_or_b32 exec_lo, exec_lo, s1
	v_lshlrev_b32_e32 v7, 1, v5
	v_mov_b32_e32 v8, 0
	s_waitcnt lgkmcnt(0)
	s_barrier
	buffer_gl0_inv
	v_add_nc_u32_e32 v17, 0x3c0, v18
	v_lshlrev_b64 v[9:10], 2, v[7:8]
	v_lshlrev_b32_e32 v7, 1, v13
	v_add_nc_u32_e32 v13, 0x400, v18
	v_add_nc_u32_e32 v19, 0x580, v18
	v_lshlrev_b64 v[6:7], 2, v[7:8]
	v_add_co_u32 v9, s0, s12, v9
	v_add_co_ci_u32_e64 v10, s0, s13, v10, s0
	v_add_co_u32 v6, s0, s12, v6
	global_load_dwordx2 v[9:10], v[9:10], off offset:920
	v_add_co_ci_u32_e64 v7, s0, s13, v7, s0
	global_load_dwordx2 v[6:7], v[6:7], off offset:920
	ds_read2_b32 v[11:12], v18 offset0:120 offset1:240
	ds_read_b32 v15, v18 offset:2400
	ds_read2_b32 v[13:14], v13 offset0:104 offset1:224
	ds_read_b32 v16, v16
	s_waitcnt vmcnt(0) lgkmcnt(0)
	s_barrier
	buffer_gl0_inv
	v_lshrrev_b32_e32 v21, 16, v12
	v_lshrrev_b32_e32 v22, 16, v15
	;; [unrolled: 1-line block ×6, first 2 shown]
	v_mul_f16_sdwa v25, v9, v21 dst_sel:DWORD dst_unused:UNUSED_PAD src0_sel:WORD_1 src1_sel:DWORD
	v_mul_f16_sdwa v26, v9, v12 dst_sel:DWORD dst_unused:UNUSED_PAD src0_sel:WORD_1 src1_sel:DWORD
	;; [unrolled: 1-line block ×4, first 2 shown]
	v_fma_f16 v12, v9, v12, -v25
	v_fmac_f16_e32 v26, v9, v21
	v_fma_f16 v9, v10, v14, -v27
	v_mul_f16_sdwa v14, v6, v28 dst_sel:DWORD dst_unused:UNUSED_PAD src0_sel:WORD_1 src1_sel:DWORD
	v_mul_f16_sdwa v21, v6, v13 dst_sel:DWORD dst_unused:UNUSED_PAD src0_sel:WORD_1 src1_sel:DWORD
	v_mul_f16_sdwa v25, v7, v22 dst_sel:DWORD dst_unused:UNUSED_PAD src0_sel:WORD_1 src1_sel:DWORD
	v_mul_f16_sdwa v27, v7, v15 dst_sel:DWORD dst_unused:UNUSED_PAD src0_sel:WORD_1 src1_sel:DWORD
	v_fmac_f16_e32 v29, v10, v23
	v_fma_f16 v10, v6, v13, -v14
	v_fmac_f16_e32 v21, v6, v28
	v_fma_f16 v6, v7, v15, -v25
	v_fmac_f16_e32 v27, v7, v22
	v_add_f16_e32 v7, v12, v16
	v_add_f16_e32 v13, v12, v9
	;; [unrolled: 1-line block ×4, first 2 shown]
	v_sub_f16_e32 v12, v12, v9
	v_add_f16_e32 v7, v7, v9
	v_fma_f16 v9, -0.5, v13, v16
	v_fmac_f16_e32 v24, -0.5, v22
	v_add_f16_e32 v16, v10, v6
	v_sub_f16_e32 v22, v21, v27
	v_add_f16_e32 v23, v20, v21
	v_add_f16_e32 v21, v21, v27
	v_sub_f16_e32 v14, v26, v29
	v_add_f16_e32 v13, v15, v29
	v_add_f16_e32 v15, v11, v10
	v_sub_f16_e32 v10, v10, v6
	v_fmac_f16_e32 v11, -0.5, v16
	v_fmac_f16_e32 v20, -0.5, v21
	v_fmamk_f16 v25, v14, 0x3aee, v9
	v_fmac_f16_e32 v9, 0xbaee, v14
	v_fmamk_f16 v14, v12, 0xbaee, v24
	v_fmac_f16_e32 v24, 0x3aee, v12
	v_add_f16_e32 v6, v15, v6
	v_add_f16_e32 v12, v23, v27
	v_pack_b32_f16 v7, v7, v13
	v_fmamk_f16 v13, v22, 0x3aee, v11
	v_fmac_f16_e32 v11, 0xbaee, v22
	v_fmamk_f16 v15, v10, 0xbaee, v20
	v_fmac_f16_e32 v20, 0x3aee, v10
	v_pack_b32_f16 v10, v25, v14
	v_pack_b32_f16 v9, v9, v24
	;; [unrolled: 1-line block ×5, first 2 shown]
	ds_write2_b32 v17, v10, v9 offset1:240
	ds_write2_b32 v18, v7, v6 offset1:120
	ds_write2_b32 v19, v12, v11 offset0:8 offset1:248
	s_waitcnt lgkmcnt(0)
	s_barrier
	buffer_gl0_inv
	s_and_saveexec_b32 s0, vcc_lo
	s_cbranch_execz .LBB0_27
; %bb.26:
	v_mul_lo_u32 v7, s3, v3
	v_mul_lo_u32 v9, s2, v4
	v_mad_u64_u32 v[3:4], null, s2, v3, 0
	v_lshl_add_u32 v15, v5, 2, v0
	v_lshlrev_b64 v[0:1], 2, v[1:2]
	v_mov_b32_e32 v6, v8
	v_add3_u32 v4, v4, v9, v7
	ds_read2_b32 v[9:10], v15 offset1:120
	v_lshlrev_b64 v[11:12], 2, v[5:6]
	v_add_nc_u32_e32 v6, 0x600, v15
	v_add_nc_u32_e32 v7, 0x78, v5
	v_lshlrev_b64 v[2:3], 2, v[3:4]
	v_add_nc_u32_e32 v4, 0x200, v15
	v_lshlrev_b64 v[13:14], 2, v[7:8]
	v_add_nc_u32_e32 v7, 0xf0, v5
	v_add_co_u32 v15, vcc_lo, s10, v2
	v_add_co_ci_u32_e32 v16, vcc_lo, s11, v3, vcc_lo
	v_lshlrev_b64 v[2:3], 2, v[7:8]
	v_add_co_u32 v19, vcc_lo, v15, v0
	v_add_co_ci_u32_e32 v20, vcc_lo, v16, v1, vcc_lo
	v_add_nc_u32_e32 v7, 0x168, v5
	v_add_co_u32 v0, vcc_lo, v19, v11
	v_add_co_ci_u32_e32 v1, vcc_lo, v20, v12, vcc_lo
	v_add_co_u32 v11, vcc_lo, v19, v13
	v_add_co_ci_u32_e32 v12, vcc_lo, v20, v14, vcc_lo
	s_waitcnt lgkmcnt(0)
	global_store_dword v[0:1], v9, off
	ds_read2_b32 v[0:1], v4 offset0:112 offset1:232
	v_lshlrev_b64 v[13:14], 2, v[7:8]
	v_add_nc_u32_e32 v7, 0x1e0, v5
	ds_read2_b32 v[15:16], v6 offset0:96 offset1:216
	v_add_co_u32 v2, vcc_lo, v19, v2
	v_add_co_ci_u32_e32 v3, vcc_lo, v20, v3, vcc_lo
	v_lshlrev_b64 v[17:18], 2, v[7:8]
	v_add_nc_u32_e32 v7, 0x258, v5
	v_add_co_u32 v4, vcc_lo, v19, v13
	v_add_co_ci_u32_e32 v5, vcc_lo, v20, v14, vcc_lo
	v_lshlrev_b64 v[6:7], 2, v[7:8]
	v_add_co_u32 v8, vcc_lo, v19, v17
	v_add_co_ci_u32_e32 v9, vcc_lo, v20, v18, vcc_lo
	v_add_co_u32 v6, vcc_lo, v19, v6
	v_add_co_ci_u32_e32 v7, vcc_lo, v20, v7, vcc_lo
	global_store_dword v[11:12], v10, off
	s_waitcnt lgkmcnt(1)
	global_store_dword v[2:3], v0, off
	global_store_dword v[4:5], v1, off
	s_waitcnt lgkmcnt(0)
	global_store_dword v[8:9], v15, off
	global_store_dword v[6:7], v16, off
.LBB0_27:
	s_endpgm
	.section	.rodata,"a",@progbits
	.p2align	6, 0x0
	.amdhsa_kernel fft_rtc_fwd_len720_factors_10_3_8_3_wgs_240_tpt_120_halfLds_half_op_CI_CI_unitstride_sbrr_C2R_dirReg
		.amdhsa_group_segment_fixed_size 0
		.amdhsa_private_segment_fixed_size 0
		.amdhsa_kernarg_size 104
		.amdhsa_user_sgpr_count 6
		.amdhsa_user_sgpr_private_segment_buffer 1
		.amdhsa_user_sgpr_dispatch_ptr 0
		.amdhsa_user_sgpr_queue_ptr 0
		.amdhsa_user_sgpr_kernarg_segment_ptr 1
		.amdhsa_user_sgpr_dispatch_id 0
		.amdhsa_user_sgpr_flat_scratch_init 0
		.amdhsa_user_sgpr_private_segment_size 0
		.amdhsa_wavefront_size32 1
		.amdhsa_uses_dynamic_stack 0
		.amdhsa_system_sgpr_private_segment_wavefront_offset 0
		.amdhsa_system_sgpr_workgroup_id_x 1
		.amdhsa_system_sgpr_workgroup_id_y 0
		.amdhsa_system_sgpr_workgroup_id_z 0
		.amdhsa_system_sgpr_workgroup_info 0
		.amdhsa_system_vgpr_workitem_id 0
		.amdhsa_next_free_vgpr 64
		.amdhsa_next_free_sgpr 27
		.amdhsa_reserve_vcc 1
		.amdhsa_reserve_flat_scratch 0
		.amdhsa_float_round_mode_32 0
		.amdhsa_float_round_mode_16_64 0
		.amdhsa_float_denorm_mode_32 3
		.amdhsa_float_denorm_mode_16_64 3
		.amdhsa_dx10_clamp 1
		.amdhsa_ieee_mode 1
		.amdhsa_fp16_overflow 0
		.amdhsa_workgroup_processor_mode 1
		.amdhsa_memory_ordered 1
		.amdhsa_forward_progress 0
		.amdhsa_shared_vgpr_count 0
		.amdhsa_exception_fp_ieee_invalid_op 0
		.amdhsa_exception_fp_denorm_src 0
		.amdhsa_exception_fp_ieee_div_zero 0
		.amdhsa_exception_fp_ieee_overflow 0
		.amdhsa_exception_fp_ieee_underflow 0
		.amdhsa_exception_fp_ieee_inexact 0
		.amdhsa_exception_int_div_zero 0
	.end_amdhsa_kernel
	.text
.Lfunc_end0:
	.size	fft_rtc_fwd_len720_factors_10_3_8_3_wgs_240_tpt_120_halfLds_half_op_CI_CI_unitstride_sbrr_C2R_dirReg, .Lfunc_end0-fft_rtc_fwd_len720_factors_10_3_8_3_wgs_240_tpt_120_halfLds_half_op_CI_CI_unitstride_sbrr_C2R_dirReg
                                        ; -- End function
	.section	.AMDGPU.csdata,"",@progbits
; Kernel info:
; codeLenInByte = 5984
; NumSgprs: 29
; NumVgprs: 64
; ScratchSize: 0
; MemoryBound: 0
; FloatMode: 240
; IeeeMode: 1
; LDSByteSize: 0 bytes/workgroup (compile time only)
; SGPRBlocks: 3
; VGPRBlocks: 7
; NumSGPRsForWavesPerEU: 29
; NumVGPRsForWavesPerEU: 64
; Occupancy: 16
; WaveLimiterHint : 1
; COMPUTE_PGM_RSRC2:SCRATCH_EN: 0
; COMPUTE_PGM_RSRC2:USER_SGPR: 6
; COMPUTE_PGM_RSRC2:TRAP_HANDLER: 0
; COMPUTE_PGM_RSRC2:TGID_X_EN: 1
; COMPUTE_PGM_RSRC2:TGID_Y_EN: 0
; COMPUTE_PGM_RSRC2:TGID_Z_EN: 0
; COMPUTE_PGM_RSRC2:TIDIG_COMP_CNT: 0
	.text
	.p2alignl 6, 3214868480
	.fill 48, 4, 3214868480
	.type	__hip_cuid_c157f39e0fa50359,@object ; @__hip_cuid_c157f39e0fa50359
	.section	.bss,"aw",@nobits
	.globl	__hip_cuid_c157f39e0fa50359
__hip_cuid_c157f39e0fa50359:
	.byte	0                               ; 0x0
	.size	__hip_cuid_c157f39e0fa50359, 1

	.ident	"AMD clang version 19.0.0git (https://github.com/RadeonOpenCompute/llvm-project roc-6.4.0 25133 c7fe45cf4b819c5991fe208aaa96edf142730f1d)"
	.section	".note.GNU-stack","",@progbits
	.addrsig
	.addrsig_sym __hip_cuid_c157f39e0fa50359
	.amdgpu_metadata
---
amdhsa.kernels:
  - .args:
      - .actual_access:  read_only
        .address_space:  global
        .offset:         0
        .size:           8
        .value_kind:     global_buffer
      - .offset:         8
        .size:           8
        .value_kind:     by_value
      - .actual_access:  read_only
        .address_space:  global
        .offset:         16
        .size:           8
        .value_kind:     global_buffer
      - .actual_access:  read_only
        .address_space:  global
        .offset:         24
        .size:           8
        .value_kind:     global_buffer
      - .actual_access:  read_only
        .address_space:  global
        .offset:         32
        .size:           8
        .value_kind:     global_buffer
      - .offset:         40
        .size:           8
        .value_kind:     by_value
      - .actual_access:  read_only
        .address_space:  global
        .offset:         48
        .size:           8
        .value_kind:     global_buffer
      - .actual_access:  read_only
        .address_space:  global
        .offset:         56
        .size:           8
        .value_kind:     global_buffer
      - .offset:         64
        .size:           4
        .value_kind:     by_value
      - .actual_access:  read_only
        .address_space:  global
        .offset:         72
        .size:           8
        .value_kind:     global_buffer
      - .actual_access:  read_only
        .address_space:  global
        .offset:         80
        .size:           8
        .value_kind:     global_buffer
      - .actual_access:  read_only
        .address_space:  global
        .offset:         88
        .size:           8
        .value_kind:     global_buffer
      - .actual_access:  write_only
        .address_space:  global
        .offset:         96
        .size:           8
        .value_kind:     global_buffer
    .group_segment_fixed_size: 0
    .kernarg_segment_align: 8
    .kernarg_segment_size: 104
    .language:       OpenCL C
    .language_version:
      - 2
      - 0
    .max_flat_workgroup_size: 240
    .name:           fft_rtc_fwd_len720_factors_10_3_8_3_wgs_240_tpt_120_halfLds_half_op_CI_CI_unitstride_sbrr_C2R_dirReg
    .private_segment_fixed_size: 0
    .sgpr_count:     29
    .sgpr_spill_count: 0
    .symbol:         fft_rtc_fwd_len720_factors_10_3_8_3_wgs_240_tpt_120_halfLds_half_op_CI_CI_unitstride_sbrr_C2R_dirReg.kd
    .uniform_work_group_size: 1
    .uses_dynamic_stack: false
    .vgpr_count:     64
    .vgpr_spill_count: 0
    .wavefront_size: 32
    .workgroup_processor_mode: 1
amdhsa.target:   amdgcn-amd-amdhsa--gfx1030
amdhsa.version:
  - 1
  - 2
...

	.end_amdgpu_metadata
